;; amdgpu-corpus repo=zjin-lcf/HeCBench kind=compiled arch=gfx1250 opt=O3
	.amdgcn_target "amdgcn-amd-amdhsa--gfx1250"
	.amdhsa_code_object_version 6
	.text
	.protected	_Z6lookupPKiPKdS0_PK16NuclideGridPointPiS2_S0_illiii ; -- Begin function _Z6lookupPKiPKdS0_PK16NuclideGridPointPiS2_S0_illiii
	.globl	_Z6lookupPKiPKdS0_PK16NuclideGridPointPiS2_S0_illiii
	.p2align	8
	.type	_Z6lookupPKiPKdS0_PK16NuclideGridPointPiS2_S0_illiii,@function
_Z6lookupPKiPKdS0_PK16NuclideGridPointPiS2_S0_illiii: ; @_Z6lookupPKiPKdS0_PK16NuclideGridPointPiS2_S0_illiii
; %bb.0:
	s_clause 0x1
	s_load_b32 s2, s[0:1], 0x6c
	s_load_b32 s3, s[0:1], 0x38
	s_bfe_u32 s4, ttmp6, 0x4000c
	s_and_b32 s5, ttmp6, 15
	s_add_co_i32 s4, s4, 1
	s_getreg_b32 s6, hwreg(HW_REG_IB_STS2, 6, 4)
	s_mul_i32 s4, ttmp9, s4
	s_delay_alu instid0(SALU_CYCLE_1) | instskip(SKIP_4) | instid1(SALU_CYCLE_1)
	s_add_co_i32 s5, s5, s4
	s_wait_kmcnt 0x0
	s_and_b32 s2, s2, 0xffff
	s_cmp_eq_u32 s6, 0
	s_cselect_b32 s4, ttmp9, s5
	v_mad_u32 v34, s4, s2, v0
	s_mov_b32 s2, exec_lo
	s_delay_alu instid0(VALU_DEP_1)
	v_cmpx_gt_i32_e64 s3, v34
	s_cbranch_execz .LBB0_78
; %bb.1:
	s_clause 0x2
	s_load_b128 s[4:7], s[0:1], 0x0
	s_load_b64 s[20:21], s[0:1], 0x10
	s_load_b64 s[2:3], s[0:1], 0x20
	v_mov_b64_e32 v[0:1], 0x45df23cb4a2bcaa7
	s_mov_b32 s12, exec_lo
	v_cmpx_ne_u32_e32 0, v34
	s_cbranch_execz .LBB0_7
; %bb.2:
	v_lshlrev_b32_e32 v2, 1, v34
	v_mov_b64_e32 v[0:1], 1
	v_mov_b64_e32 v[4:5], 0
	s_mov_b64 s[8:9], 0x26f19d38e48e2825
	s_mov_b32 s13, 0
	v_ashrrev_i32_e32 v3, 31, v2
	s_mov_b64 s[10:11], 1
	s_delay_alu instid0(VALU_DEP_1)
	v_and_b32_e32 v3, 0x7fffffff, v3
	s_branch .LBB0_4
.LBB0_3:                                ;   in Loop: Header=BB0_4 Depth=1
	s_or_b32 exec_lo, exec_lo, s14
	v_lshrrev_b64 v[6:7], 1, v[2:3]
	v_cmp_gt_u64_e32 vcc_lo, 2, v[2:3]
	s_add_nc_u64 s[14:15], s[8:9], 1
	s_mul_u64 s[8:9], s[8:9], s[8:9]
	s_mul_u64 s[10:11], s[14:15], s[10:11]
	s_delay_alu instid0(VALU_DEP_2) | instskip(SKIP_1) | instid1(SALU_CYCLE_1)
	v_mov_b64_e32 v[2:3], v[6:7]
	s_or_b32 s13, vcc_lo, s13
	s_and_not1_b32 exec_lo, exec_lo, s13
	s_cbranch_execz .LBB0_6
.LBB0_4:                                ; =>This Inner Loop Header: Depth=1
	s_delay_alu instid0(VALU_DEP_1) | instskip(SKIP_1) | instid1(VALU_DEP_1)
	v_and_b32_e32 v6, 1, v2
	s_mov_b32 s14, exec_lo
	v_cmpx_eq_u32_e32 1, v6
	s_cbranch_execz .LBB0_3
; %bb.5:                                ;   in Loop: Header=BB0_4 Depth=1
	v_mad_nc_u64_u32 v[6:7], s8, v4, s[10:11]
	v_mul_u64_e32 v[0:1], s[8:9], v[0:1]
	s_delay_alu instid0(VALU_DEP_2) | instskip(NEXT) | instid1(VALU_DEP_1)
	v_mad_u32 v4, s9, v4, v7
	v_mad_u32 v7, s8, v5, v4
	s_delay_alu instid0(VALU_DEP_1)
	v_mov_b64_e32 v[4:5], v[6:7]
	s_branch .LBB0_3
.LBB0_6:
	s_or_b32 exec_lo, exec_lo, s13
	v_mad_nc_u64_u32 v[2:3], 0x42e, v0, v[4:5]
	s_delay_alu instid0(VALU_DEP_1) | instskip(NEXT) | instid1(VALU_DEP_2)
	v_mad_u32 v3, 0x42e, v1, v3
	v_mad_nc_u64_u32 v[0:1], 0xe48e2825, v2, 1
	s_delay_alu instid0(VALU_DEP_1) | instskip(NEXT) | instid1(VALU_DEP_1)
	v_mad_u32 v1, 0xe48e2825, v3, v1
	v_mad_u32 v1, 0x26f19d38, v2, v1
	s_delay_alu instid0(VALU_DEP_1)
	v_and_b32_e32 v1, 0x7fffffff, v1
.LBB0_7:
	s_or_b32 exec_lo, exec_lo, s12
	s_delay_alu instid0(VALU_DEP_2)
	v_mad_nc_u64_u32 v[2:3], 0xe48e2825, v0, 1
	s_mov_b64 s[8:9], 0x3faa9fbe76c8b439
	s_clause 0x1
	s_load_b64 s[22:23], s[0:1], 0x18
	s_load_b128 s[12:15], s[0:1], 0x28
	v_mov_b32_e32 v12, 1
	s_delay_alu instid0(VALU_DEP_2) | instskip(NEXT) | instid1(VALU_DEP_1)
	v_mad_u32 v3, 0xe48e2825, v1, v3
	v_mad_u32 v3, 0x26f19d38, v0, v3
	s_delay_alu instid0(VALU_DEP_1) | instskip(NEXT) | instid1(VALU_DEP_1)
	v_and_b32_e32 v3, 0x7fffffff, v3
	v_cvt_f64_u32_e32 v[4:5], v3
	v_cvt_f64_u32_e32 v[2:3], v2
	s_delay_alu instid0(VALU_DEP_2) | instskip(NEXT) | instid1(VALU_DEP_1)
	v_ldexp_f64 v[4:5], v[4:5], 32
	v_add_f64_e32 v[2:3], v[4:5], v[2:3]
	s_delay_alu instid0(VALU_DEP_1) | instskip(NEXT) | instid1(VALU_DEP_1)
	v_ldexp_f64 v[2:3], v[2:3], 0xffffffc1
	v_cmp_ngt_f64_e32 vcc_lo, s[8:9], v[2:3]
	s_and_saveexec_b32 s8, vcc_lo
	s_cbranch_execz .LBB0_29
; %bb.8:
	v_mov_b32_e32 v12, 2
	s_mov_b64 s[10:11], 0x3fd4ed916872b021
	s_mov_b32 s9, exec_lo
	v_cmpx_ngt_f64_e32 s[10:11], v[2:3]
	s_cbranch_execz .LBB0_28
; %bb.9:
	s_mov_b64 s[10:11], 0x3fdd810624dd2f1b
	v_mov_b32_e32 v12, 3
	v_cmp_ngt_f64_e32 vcc_lo, s[10:11], v[2:3]
	s_and_saveexec_b32 s10, vcc_lo
	s_cbranch_execz .LBB0_27
; %bb.10:
	v_mov_b32_e32 v12, 4
	s_mov_b64 s[16:17], 0x3fe3ae147ae147af
	s_mov_b32 s11, exec_lo
	v_cmpx_ngt_f64_e32 s[16:17], v[2:3]
	s_cbranch_execz .LBB0_26
; %bb.11:
	s_mov_b64 s[16:17], 0x3fe5ba5e353f7cee
	v_mov_b32_e32 v12, 5
	;; [unrolled: 12-line block ×5, first 2 shown]
	v_cmp_ngt_f64_e32 vcc_lo, s[26:27], v[2:3]
	s_and_saveexec_b32 s26, vcc_lo
; %bb.18:
	v_mov_b32_e32 v12, 0
; %bb.19:
	s_or_b32 exec_lo, exec_lo, s26
.LBB0_20:
	s_delay_alu instid0(SALU_CYCLE_1)
	s_or_b32 exec_lo, exec_lo, s25
.LBB0_21:
	s_delay_alu instid0(SALU_CYCLE_1)
	s_or_b32 exec_lo, exec_lo, s24
.LBB0_22:
	s_delay_alu instid0(SALU_CYCLE_1)
	s_or_b32 exec_lo, exec_lo, s19
.LBB0_23:
	s_delay_alu instid0(SALU_CYCLE_1)
	s_or_b32 exec_lo, exec_lo, s18
.LBB0_24:
	s_delay_alu instid0(SALU_CYCLE_1)
	s_or_b32 exec_lo, exec_lo, s17
.LBB0_25:
	s_delay_alu instid0(SALU_CYCLE_1)
	s_or_b32 exec_lo, exec_lo, s16
.LBB0_26:
	s_delay_alu instid0(SALU_CYCLE_1)
	s_or_b32 exec_lo, exec_lo, s11
.LBB0_27:
	s_delay_alu instid0(SALU_CYCLE_1)
	s_or_b32 exec_lo, exec_lo, s10
.LBB0_28:
	s_delay_alu instid0(SALU_CYCLE_1)
	s_or_b32 exec_lo, exec_lo, s9
.LBB0_29:
	s_delay_alu instid0(SALU_CYCLE_1)
	s_or_b32 exec_lo, exec_lo, s8
	v_cvt_f64_u32_e32 v[2:3], v1
	v_cvt_f64_u32_e32 v[0:1], v0
	s_clause 0x1
	s_load_b96 s[16:18], s[0:1], 0x50
	s_load_b128 s[8:11], s[0:1], 0x40
	s_wait_kmcnt 0x0
	s_cmp_lt_i32 s16, 2
	s_delay_alu instid0(VALU_DEP_2) | instskip(NEXT) | instid1(VALU_DEP_1)
	v_ldexp_f64 v[2:3], v[2:3], 32
	v_add_f64_e32 v[0:1], v[2:3], v[0:1]
	s_delay_alu instid0(VALU_DEP_1)
	v_ldexp_f64 v[0:1], v[0:1], 0xffffffc1
	s_cbranch_scc1 .LBB0_33
; %bb.30:
	v_mov_b64_e32 v[16:17], -1
	s_cmp_eq_u32 s16, 2
	s_cbranch_scc0 .LBB0_32
; %bb.31:
	v_cvt_f64_i32_e32 v[2:3], s17
	s_delay_alu instid0(VALU_DEP_1) | instskip(SKIP_1) | instid1(VALU_DEP_2)
	v_div_scale_f64 v[4:5], null, v[2:3], v[2:3], 1.0
	v_div_scale_f64 v[10:11], vcc_lo, 1.0, v[2:3], 1.0
	v_rcp_f64_e32 v[6:7], v[4:5]
	v_nop
	s_delay_alu instid0(TRANS32_DEP_1) | instskip(NEXT) | instid1(VALU_DEP_1)
	v_fma_f64 v[8:9], -v[4:5], v[6:7], 1.0
	v_fmac_f64_e32 v[6:7], v[6:7], v[8:9]
	s_delay_alu instid0(VALU_DEP_1) | instskip(NEXT) | instid1(VALU_DEP_1)
	v_fma_f64 v[8:9], -v[4:5], v[6:7], 1.0
	v_fmac_f64_e32 v[6:7], v[6:7], v[8:9]
	s_delay_alu instid0(VALU_DEP_1) | instskip(NEXT) | instid1(VALU_DEP_1)
	v_mul_f64_e32 v[8:9], v[10:11], v[6:7]
	v_fma_f64 v[4:5], -v[4:5], v[8:9], v[10:11]
	s_delay_alu instid0(VALU_DEP_1) | instskip(NEXT) | instid1(VALU_DEP_1)
	v_div_fmas_f64 v[4:5], v[4:5], v[6:7], v[8:9]
	v_div_fixup_f64 v[2:3], v[4:5], v[2:3], 1.0
	s_delay_alu instid0(VALU_DEP_1) | instskip(SKIP_1) | instid1(VALU_DEP_2)
	v_div_scale_f64 v[4:5], null, v[2:3], v[2:3], v[0:1]
	v_div_scale_f64 v[10:11], vcc_lo, v[0:1], v[2:3], v[0:1]
	v_rcp_f64_e32 v[6:7], v[4:5]
	v_nop
	s_delay_alu instid0(TRANS32_DEP_1) | instskip(NEXT) | instid1(VALU_DEP_1)
	v_fma_f64 v[8:9], -v[4:5], v[6:7], 1.0
	v_fmac_f64_e32 v[6:7], v[6:7], v[8:9]
	s_delay_alu instid0(VALU_DEP_1) | instskip(NEXT) | instid1(VALU_DEP_1)
	v_fma_f64 v[8:9], -v[4:5], v[6:7], 1.0
	v_fmac_f64_e32 v[6:7], v[6:7], v[8:9]
	s_delay_alu instid0(VALU_DEP_1) | instskip(NEXT) | instid1(VALU_DEP_1)
	v_mul_f64_e32 v[8:9], v[10:11], v[6:7]
	v_fma_f64 v[4:5], -v[4:5], v[8:9], v[10:11]
	s_delay_alu instid0(VALU_DEP_1) | instskip(NEXT) | instid1(VALU_DEP_1)
	v_div_fmas_f64 v[4:5], v[4:5], v[6:7], v[8:9]
	v_div_fixup_f64 v[2:3], v[4:5], v[2:3], v[0:1]
	s_delay_alu instid0(VALU_DEP_1) | instskip(NEXT) | instid1(VALU_DEP_1)
	v_trunc_f64_e32 v[2:3], v[2:3]
	v_ldexp_f64 v[4:5], v[2:3], 0xffffffe0
	s_delay_alu instid0(VALU_DEP_1) | instskip(NEXT) | instid1(VALU_DEP_1)
	v_floor_f64_e32 v[4:5], v[4:5]
	v_fmamk_f64 v[2:3], v[4:5], 0xc1f00000, v[2:3]
	v_cvt_i32_f64_e32 v17, v[4:5]
	s_delay_alu instid0(VALU_DEP_2)
	v_cvt_u32_f64_e32 v16, v[2:3]
.LBB0_32:
	s_cbranch_execz .LBB0_34
	s_branch .LBB0_39
.LBB0_33:
                                        ; implicit-def: $vgpr16_vgpr17
.LBB0_34:
	v_mov_b64_e32 v[16:17], -1
	s_cmp_lg_u32 s16, 0
	s_cbranch_scc1 .LBB0_39
; %bb.35:
	s_mul_u64 s[0:1], s[10:11], s[8:9]
	v_mov_b64_e32 v[16:17], 0
	v_cmp_lt_i64_e64 s19, s[0:1], 3
	s_and_b32 vcc_lo, exec_lo, s19
	s_cbranch_vccnz .LBB0_39
; %bb.36:
	s_add_nc_u64 s[0:1], s[0:1], -1
	v_mov_b64_e32 v[16:17], 0
	v_mov_b64_e32 v[4:5], s[0:1]
	v_mov_b64_e32 v[2:3], s[0:1]
	s_mov_b32 s0, 0
.LBB0_37:                               ; =>This Inner Loop Header: Depth=1
	s_delay_alu instid0(VALU_DEP_2) | instskip(NEXT) | instid1(VALU_DEP_1)
	v_lshrrev_b64 v[4:5], 1, v[4:5]
	v_add_nc_u64_e32 v[4:5], v[4:5], v[16:17]
	s_delay_alu instid0(VALU_DEP_1)
	v_lshl_add_u64 v[6:7], v[4:5], 3, s[12:13]
	global_load_b64 v[6:7], v[6:7], off
	s_wait_loadcnt 0x0
	v_cmp_gt_f64_e32 vcc_lo, v[6:7], v[0:1]
	v_dual_cndmask_b32 v3, v3, v5 :: v_dual_cndmask_b32 v2, v2, v4
	v_dual_cndmask_b32 v17, v5, v17 :: v_dual_cndmask_b32 v16, v4, v16
	s_delay_alu instid0(VALU_DEP_1) | instskip(NEXT) | instid1(VALU_DEP_1)
	v_sub_nc_u64_e32 v[4:5], v[2:3], v[16:17]
	v_cmp_gt_i64_e32 vcc_lo, 2, v[4:5]
	s_or_b32 s0, vcc_lo, s0
	s_delay_alu instid0(SALU_CYCLE_1)
	s_and_not1_b32 exec_lo, exec_lo, s0
	s_cbranch_execnz .LBB0_37
; %bb.38:
	s_or_b32 exec_lo, exec_lo, s0
.LBB0_39:
	global_load_b32 v35, v12, s[4:5] scale_offset
	v_mov_b64_e32 v[2:3], 0
	v_mov_b64_e32 v[4:5], 0
	;; [unrolled: 1-line block ×5, first 2 shown]
	s_wait_xcnt 0x0
	s_mov_b32 s5, 0
	s_mov_b32 s26, exec_lo
	s_wait_loadcnt 0x0
	v_cmpx_lt_i32_e32 0, v35
	s_cbranch_execz .LBB0_77
; %bb.40:
	v_mul_u64_e32 v[14:15], s[8:9], v[16:17]
	v_mul_lo_u32 v36, v12, s18
	s_add_co_i32 s0, s17, -1
	s_add_nc_u64 s[12:13], s[10:11], -1
	s_ashr_i32 s1, s0, 31
	v_mov_b64_e32 v[2:3], 0
	v_mov_b64_e32 v[4:5], 0
	;; [unrolled: 1-line block ×5, first 2 shown]
	v_cmp_gt_i64_e64 s27, s[12:13], 1
	v_cmp_ne_u64_e64 s0, s[0:1], v[16:17]
	v_mov_b32_e32 v12, 0
	s_add_co_i32 s17, s10, -1
	s_add_nc_u64 s[18:19], s[10:11], -2
	s_mov_b64 s[24:25], 0xffffffff
	s_sub_co_i32 s28, 0, s10
	s_mov_b32 s29, 0
	s_mov_b32 s30, 0
	v_lshl_add_u64 v[14:15], v[14:15], 2, s[14:15]
	s_delay_alu instid0(VALU_DEP_1)
	v_lshl_add_u64 v[16:17], s[8:9], 2, v[14:15]
	s_ashr_i32 s8, s11, 31
	s_branch .LBB0_43
.LBB0_41:                               ;   in Loop: Header=BB0_43 Depth=1
	s_or_b32 exec_lo, exec_lo, s1
.LBB0_42:                               ;   in Loop: Header=BB0_43 Depth=1
	s_delay_alu instid0(VALU_DEP_1) | instskip(SKIP_1) | instid1(VALU_DEP_1)
	v_mad_nc_u64_u32 v[32:33], v24, 48, s[22:23]
	s_add_co_i32 s30, s30, 1
	v_mad_u32 v33, v25, 48, v33
	s_clause 0x5
	global_load_b128 v[20:23], v[32:33], off offset:48
	global_load_b128 v[24:27], v[32:33], off
	global_load_b128 v[28:31], v[32:33], off offset:32
	global_load_b128 v[38:41], v[32:33], off offset:16
	;; [unrolled: 1-line block ×4, first 2 shown]
	s_wait_loadcnt 0x5
	v_add_f64_e64 v[50:51], v[20:21], -v[0:1]
	s_wait_loadcnt 0x4
	v_add_f64_e64 v[20:21], v[20:21], -v[24:25]
	v_add_f64_e64 v[26:27], v[22:23], -v[26:27]
	s_wait_loadcnt 0x0
	v_add_f64_e64 v[28:29], v[46:47], -v[28:29]
	v_add_f64_e64 v[30:31], v[48:49], -v[30:31]
	s_delay_alu instid0(VALU_DEP_4) | instskip(SKIP_1) | instid1(VALU_DEP_2)
	v_div_scale_f64 v[24:25], null, v[20:21], v[20:21], v[50:51]
	v_div_scale_f64 v[54:55], vcc_lo, v[50:51], v[20:21], v[50:51]
	v_rcp_f64_e32 v[32:33], v[24:25]
	v_nop
	s_delay_alu instid0(TRANS32_DEP_1) | instskip(NEXT) | instid1(VALU_DEP_1)
	v_fma_f64 v[52:53], -v[24:25], v[32:33], 1.0
	v_fmac_f64_e32 v[32:33], v[32:33], v[52:53]
	s_delay_alu instid0(VALU_DEP_1) | instskip(NEXT) | instid1(VALU_DEP_1)
	v_fma_f64 v[52:53], -v[24:25], v[32:33], 1.0
	v_fmac_f64_e32 v[32:33], v[32:33], v[52:53]
	s_delay_alu instid0(VALU_DEP_1) | instskip(NEXT) | instid1(VALU_DEP_1)
	v_mul_f64_e32 v[52:53], v[54:55], v[32:33]
	v_fma_f64 v[24:25], -v[24:25], v[52:53], v[54:55]
	s_delay_alu instid0(VALU_DEP_1) | instskip(SKIP_3) | instid1(VALU_DEP_3)
	v_div_fmas_f64 v[24:25], v[24:25], v[32:33], v[52:53]
	v_add_f64_e64 v[32:33], v[44:45], -v[40:41]
	v_cmp_eq_u32_e32 vcc_lo, s30, v35
	s_or_b32 s29, vcc_lo, s29
	v_div_fixup_f64 v[20:21], v[24:25], v[20:21], v[50:51]
	v_add_f64_e64 v[24:25], v[42:43], -v[38:39]
	s_delay_alu instid0(VALU_DEP_2) | instskip(NEXT) | instid1(VALU_DEP_2)
	v_fma_f64 v[22:23], -v[20:21], v[26:27], v[22:23]
	v_fma_f64 v[24:25], -v[20:21], v[24:25], v[42:43]
	;; [unrolled: 1-line block ×5, first 2 shown]
	v_fmac_f64_e32 v[10:11], v[18:19], v[22:23]
	v_fmac_f64_e32 v[8:9], v[18:19], v[24:25]
	;; [unrolled: 1-line block ×5, first 2 shown]
	s_and_not1_b32 exec_lo, exec_lo, s29
	s_cbranch_execz .LBB0_76
.LBB0_43:                               ; =>This Loop Header: Depth=1
                                        ;     Child Loop BB0_50 Depth 2
                                        ;     Child Loop BB0_63 Depth 2
	v_add_nc_u32_e32 v13, s30, v36
	s_mov_b32 s9, -1
	s_mov_b32 s1, 0
	s_cmp_lt_i32 s16, 1
	s_mov_b32 s4, 0
	s_clause 0x1
	global_load_b32 v20, v13, s[20:21] scale_offset
	global_load_b64 v[18:19], v13, s[6:7] scale_offset
                                        ; implicit-def: $vgpr24_vgpr25
	s_wait_loadcnt 0x1
	v_ashrrev_i32_e32 v21, 31, v20
	s_cbranch_scc0 .LBB0_47
; %bb.44:                               ;   in Loop: Header=BB0_43 Depth=1
	s_and_b32 vcc_lo, exec_lo, s9
	s_cbranch_vccnz .LBB0_54
.LBB0_45:                               ;   in Loop: Header=BB0_43 Depth=1
	s_delay_alu instid0(VALU_DEP_1)
	v_lshl_add_u64 v[22:23], v[20:21], 2, v[14:15]
	s_and_not1_b32 vcc_lo, exec_lo, s4
	s_cbranch_vccz .LBB0_55
.LBB0_46:                               ;   in Loop: Header=BB0_43 Depth=1
	s_and_b32 vcc_lo, exec_lo, s1
	s_cbranch_vccz .LBB0_42
	s_branch .LBB0_72
.LBB0_47:                               ;   in Loop: Header=BB0_43 Depth=1
	s_cmp_eq_u32 s16, 1
	s_mov_b32 s4, -1
                                        ; implicit-def: $vgpr24_vgpr25
	s_cbranch_scc0 .LBB0_53
; %bb.48:                               ;   in Loop: Header=BB0_43 Depth=1
	v_mul_u64_e32 v[22:23], s[10:11], v[20:21]
	s_and_not1_b32 vcc_lo, exec_lo, s27
	s_cbranch_vccnz .LBB0_52
; %bb.49:                               ;   in Loop: Header=BB0_43 Depth=1
	s_delay_alu instid0(VALU_DEP_1)
	v_add_nc_u64_e32 v[24:25], s[12:13], v[22:23]
	v_mov_b64_e32 v[26:27], s[12:13]
	s_mov_b32 s4, 0
.LBB0_50:                               ;   Parent Loop BB0_43 Depth=1
                                        ; =>  This Inner Loop Header: Depth=2
	s_delay_alu instid0(VALU_DEP_1) | instskip(NEXT) | instid1(VALU_DEP_1)
	v_lshrrev_b64 v[26:27], 1, v[26:27]
	v_add_nc_u64_e32 v[26:27], v[26:27], v[22:23]
	s_delay_alu instid0(VALU_DEP_1) | instskip(NEXT) | instid1(VALU_DEP_1)
	v_mad_nc_u64_u32 v[28:29], v26, 48, s[22:23]
	v_mad_u32 v29, v27, 48, v29
	global_load_b64 v[28:29], v[28:29], off
	s_wait_loadcnt 0x0
	v_cmp_gt_f64_e32 vcc_lo, v[28:29], v[0:1]
	v_dual_cndmask_b32 v25, v25, v27 :: v_dual_cndmask_b32 v24, v24, v26
	v_dual_cndmask_b32 v23, v27, v23 :: v_dual_cndmask_b32 v22, v26, v22
	s_delay_alu instid0(VALU_DEP_1) | instskip(NEXT) | instid1(VALU_DEP_1)
	v_sub_nc_u64_e32 v[26:27], v[24:25], v[22:23]
	v_cmp_gt_i64_e32 vcc_lo, 2, v[26:27]
	s_or_b32 s4, vcc_lo, s4
	s_delay_alu instid0(SALU_CYCLE_1)
	s_and_not1_b32 exec_lo, exec_lo, s4
	s_cbranch_execnz .LBB0_50
; %bb.51:                               ;   in Loop: Header=BB0_43 Depth=1
	s_or_b32 exec_lo, exec_lo, s4
.LBB0_52:                               ;   in Loop: Header=BB0_43 Depth=1
	s_delay_alu instid0(VALU_DEP_1) | instskip(SKIP_3) | instid1(VALU_DEP_1)
	v_cmp_eq_u64_e32 vcc_lo, s[12:13], v[22:23]
	v_mov_b32_e32 v25, s5
	s_mov_b32 s4, 0
	v_cndmask_b32_e64 v24, 0, 1, vcc_lo
	v_sub_nc_u64_e32 v[24:25], v[22:23], v[24:25]
.LBB0_53:                               ;   in Loop: Header=BB0_43 Depth=1
	s_branch .LBB0_45
.LBB0_54:                               ;   in Loop: Header=BB0_43 Depth=1
	s_cmp_lg_u32 s16, 0
	s_mov_b32 s1, -1
	s_cselect_b32 s4, -1, 0
	v_lshl_add_u64 v[22:23], v[20:21], 2, v[14:15]
	s_and_not1_b32 vcc_lo, exec_lo, s4
	s_cbranch_vccnz .LBB0_46
.LBB0_55:                               ;   in Loop: Header=BB0_43 Depth=1
	global_load_b32 v30, v[22:23], off
	v_mov_b32_e32 v32, s17
	s_wait_xcnt 0x0
	s_and_saveexec_b32 s1, s0
	s_cbranch_execz .LBB0_57
; %bb.56:                               ;   in Loop: Header=BB0_43 Depth=1
	v_lshl_add_u64 v[24:25], v[20:21], 2, v[16:17]
	global_load_b32 v13, v[24:25], off
	s_wait_loadcnt 0x0
	v_add_nc_u32_e32 v32, 1, v13
.LBB0_57:                               ;   in Loop: Header=BB0_43 Depth=1
	s_or_b32 exec_lo, exec_lo, s1
	v_mul_u64_e32 v[24:25], s[10:11], v[20:21]
	s_wait_loadcnt 0x0
	v_ashrrev_i32_e32 v31, 31, v30
	s_mov_b32 s1, exec_lo
	s_delay_alu instid0(VALU_DEP_1) | instskip(NEXT) | instid1(VALU_DEP_1)
	v_add_nc_u64_e32 v[26:27], v[24:25], v[30:31]
	v_mad_nc_u64_u32 v[28:29], v26, 48, s[22:23]
	s_delay_alu instid0(VALU_DEP_1)
	v_mad_u32 v29, v27, 48, v29
	global_load_b64 v[28:29], v[28:29], off
	s_wait_loadcnt 0x0
	v_cmpx_nle_f64_e32 v[0:1], v[28:29]
	s_cbranch_execz .LBB0_67
; %bb.58:                               ;   in Loop: Header=BB0_43 Depth=1
	v_ashrrev_i32_e32 v33, 31, v32
	s_mov_b32 s4, exec_lo
	s_delay_alu instid0(VALU_DEP_1) | instskip(NEXT) | instid1(VALU_DEP_1)
	v_add_nc_u64_e32 v[28:29], v[24:25], v[32:33]
	v_mad_nc_u64_u32 v[38:39], v28, 48, s[22:23]
	s_delay_alu instid0(VALU_DEP_1)
	v_mad_u32 v39, v29, 48, v39
	global_load_b64 v[38:39], v[38:39], off
	s_wait_loadcnt 0x0
	v_cmpx_ge_f64_e32 v[0:1], v[38:39]
	s_xor_b32 s4, exec_lo, s4
; %bb.59:                               ;   in Loop: Header=BB0_43 Depth=1
	v_add_nc_u64_e32 v[26:27], s[12:13], v[24:25]
                                        ; implicit-def: $vgpr32_vgpr33
                                        ; implicit-def: $vgpr30_vgpr31
                                        ; implicit-def: $vgpr28_vgpr29
; %bb.60:                               ;   in Loop: Header=BB0_43 Depth=1
	s_and_not1_saveexec_b32 s4, s4
	s_cbranch_execz .LBB0_66
; %bb.61:                               ;   in Loop: Header=BB0_43 Depth=1
	v_sub_nc_u64_e32 v[24:25], v[32:33], v[30:31]
	s_mov_b32 s9, exec_lo
	s_delay_alu instid0(VALU_DEP_1)
	v_cmpx_lt_i64_e32 1, v[24:25]
	s_cbranch_execz .LBB0_65
; %bb.62:                               ;   in Loop: Header=BB0_43 Depth=1
	s_mov_b32 s14, 0
.LBB0_63:                               ;   Parent Loop BB0_43 Depth=1
                                        ; =>  This Inner Loop Header: Depth=2
	v_lshrrev_b64 v[24:25], 1, v[24:25]
	s_delay_alu instid0(VALU_DEP_1) | instskip(NEXT) | instid1(VALU_DEP_1)
	v_add_nc_u64_e32 v[24:25], v[24:25], v[26:27]
	v_mad_nc_u64_u32 v[30:31], v24, 48, s[22:23]
	s_delay_alu instid0(VALU_DEP_1)
	v_mad_u32 v31, v25, 48, v31
	global_load_b64 v[30:31], v[30:31], off
	s_wait_loadcnt 0x0
	v_cmp_gt_f64_e32 vcc_lo, v[30:31], v[0:1]
	v_dual_cndmask_b32 v29, v29, v25 :: v_dual_cndmask_b32 v28, v28, v24
	v_dual_cndmask_b32 v27, v25, v27 :: v_dual_cndmask_b32 v26, v24, v26
	s_delay_alu instid0(VALU_DEP_1) | instskip(NEXT) | instid1(VALU_DEP_1)
	v_sub_nc_u64_e32 v[24:25], v[28:29], v[26:27]
	v_cmp_gt_i64_e32 vcc_lo, 2, v[24:25]
	s_or_b32 s14, vcc_lo, s14
	s_delay_alu instid0(SALU_CYCLE_1)
	s_and_not1_b32 exec_lo, exec_lo, s14
	s_cbranch_execnz .LBB0_63
; %bb.64:                               ;   in Loop: Header=BB0_43 Depth=1
	s_or_b32 exec_lo, exec_lo, s14
.LBB0_65:                               ;   in Loop: Header=BB0_43 Depth=1
	s_delay_alu instid0(SALU_CYCLE_1)
	s_or_b32 exec_lo, exec_lo, s9
.LBB0_66:                               ;   in Loop: Header=BB0_43 Depth=1
	s_delay_alu instid0(SALU_CYCLE_1) | instskip(NEXT) | instid1(VALU_DEP_1)
	s_or_b32 exec_lo, exec_lo, s4
	v_mov_b64_e32 v[24:25], v[26:27]
.LBB0_67:                               ;   in Loop: Header=BB0_43 Depth=1
	s_or_b32 exec_lo, exec_lo, s1
	s_delay_alu instid0(VALU_DEP_1) | instskip(SKIP_1) | instid1(VALU_DEP_1)
	v_or_b32_e32 v13, s11, v25
                                        ; implicit-def: $vgpr26_vgpr27
	s_mov_b32 s1, exec_lo
	v_cmpx_ne_u64_e32 0, v[12:13]
	s_xor_b32 s31, exec_lo, s1
	s_cbranch_execz .LBB0_69
; %bb.68:                               ;   in Loop: Header=BB0_43 Depth=1
	s_mov_b32 s9, s8
	v_dual_mov_b32 v31, v12 :: v_dual_ashrrev_i32 v26, 31, v25
	s_add_nc_u64 s[14:15], s[10:11], s[8:9]
	s_delay_alu instid0(SALU_CYCLE_1) | instskip(NEXT) | instid1(VALU_DEP_1)
	s_xor_b64 s[14:15], s[14:15], s[8:9]
	v_mov_b32_e32 v27, v26
	s_cvt_f32_u32 s1, s14
	s_cvt_f32_u32 s4, s15
	s_sub_nc_u64 s[36:37], 0, s[14:15]
	s_delay_alu instid0(VALU_DEP_1) | instskip(NEXT) | instid1(SALU_CYCLE_1)
	v_add_nc_u64_e32 v[28:29], v[24:25], v[26:27]
	s_fmamk_f32 s1, s4, 0x4f800000, s1
	v_mov_b32_e32 v39, v12
	s_delay_alu instid0(SALU_CYCLE_2) | instskip(NEXT) | instid1(VALU_DEP_2)
	v_s_rcp_f32 s1, s1
	v_xor_b32_e32 v30, v28, v26
	s_delay_alu instid0(VALU_DEP_3) | instskip(NEXT) | instid1(TRANS32_DEP_1)
	v_dual_mov_b32 v43, v12 :: v_dual_bitop2_b32 v38, v29, v26 bitop3:0x14
	s_mul_f32 s1, s1, 0x5f7ffffc
	s_delay_alu instid0(SALU_CYCLE_3) | instskip(NEXT) | instid1(SALU_CYCLE_3)
	s_mul_f32 s4, s1, 0x2f800000
	s_trunc_f32 s4, s4
	s_delay_alu instid0(SALU_CYCLE_3) | instskip(SKIP_1) | instid1(SALU_CYCLE_2)
	s_fmamk_f32 s1, s4, 0xcf800000, s1
	s_cvt_u32_f32 s35, s4
	s_cvt_u32_f32 s34, s1
	s_delay_alu instid0(SALU_CYCLE_3) | instskip(NEXT) | instid1(SALU_CYCLE_1)
	s_mul_u64 s[38:39], s[36:37], s[34:35]
	s_mul_hi_u32 s41, s34, s39
	s_mul_i32 s40, s34, s39
	s_mul_hi_u32 s4, s34, s38
	s_mul_i32 s9, s35, s38
	s_add_nc_u64 s[40:41], s[4:5], s[40:41]
	s_mul_hi_u32 s1, s35, s38
	s_mul_hi_u32 s33, s35, s39
	s_add_co_u32 s4, s40, s9
	s_add_co_ci_u32 s4, s41, s1
	s_mul_i32 s38, s35, s39
	s_add_co_ci_u32 s39, s33, 0
	s_delay_alu instid0(SALU_CYCLE_1) | instskip(NEXT) | instid1(SALU_CYCLE_1)
	s_add_nc_u64 s[38:39], s[4:5], s[38:39]
	s_add_co_u32 s34, s34, s38
	s_cselect_b32 s1, -1, 0
	s_delay_alu instid0(SALU_CYCLE_1) | instskip(SKIP_1) | instid1(SALU_CYCLE_1)
	s_cmp_lg_u32 s1, 0
	s_add_co_ci_u32 s35, s35, s39
	s_mul_u64 s[36:37], s[36:37], s[34:35]
	s_delay_alu instid0(SALU_CYCLE_1)
	s_mul_hi_u32 s39, s34, s37
	s_mul_i32 s38, s34, s37
	s_mul_hi_u32 s4, s34, s36
	s_mul_i32 s9, s35, s36
	s_add_nc_u64 s[38:39], s[4:5], s[38:39]
	s_mul_hi_u32 s1, s35, s36
	s_mul_hi_u32 s33, s35, s37
	s_add_co_u32 s4, s38, s9
	s_add_co_ci_u32 s4, s39, s1
	s_mul_i32 s36, s35, s37
	s_add_co_ci_u32 s37, s33, 0
	s_delay_alu instid0(SALU_CYCLE_1) | instskip(NEXT) | instid1(SALU_CYCLE_1)
	s_add_nc_u64 s[36:37], s[4:5], s[36:37]
	s_add_co_u32 s34, s34, s36
	s_cselect_b32 s1, -1, 0
	v_mul_hi_u32 v42, v30, s34
	s_cmp_lg_u32 s1, 0
	s_add_co_ci_u32 s4, s35, s37
	s_and_b64 s[36:37], s[34:35], s[24:25]
	v_mul_u64_e32 v[32:33], s[4:5], v[30:31]
	v_mul_u64_e32 v[28:29], s[36:37], v[38:39]
	;; [unrolled: 1-line block ×3, first 2 shown]
	s_delay_alu instid0(VALU_DEP_3) | instskip(NEXT) | instid1(VALU_DEP_1)
	v_add_nc_u64_e32 v[32:33], v[42:43], v[32:33]
	v_add_co_u32 v13, vcc_lo, v32, v28
	s_delay_alu instid0(VALU_DEP_2) | instskip(NEXT) | instid1(VALU_DEP_4)
	v_add_co_ci_u32_e32 v42, vcc_lo, v33, v29, vcc_lo
	v_add_co_ci_u32_e32 v41, vcc_lo, 0, v41, vcc_lo
	s_delay_alu instid0(VALU_DEP_1) | instskip(NEXT) | instid1(VALU_DEP_1)
	v_add_nc_u64_e32 v[28:29], v[42:43], v[40:41]
	v_mul_u64_e32 v[28:29], s[14:15], v[28:29]
	s_delay_alu instid0(VALU_DEP_1) | instskip(NEXT) | instid1(VALU_DEP_2)
	v_sub_nc_u32_e32 v13, v38, v29
	v_sub_co_u32 v28, vcc_lo, v30, v28
	s_delay_alu instid0(VALU_DEP_1) | instskip(NEXT) | instid1(VALU_DEP_3)
	v_sub_co_ci_u32_e64 v29, null, v38, v29, vcc_lo
	v_subrev_co_ci_u32_e64 v13, null, s15, v13, vcc_lo
	s_delay_alu instid0(VALU_DEP_3) | instskip(SKIP_1) | instid1(VALU_DEP_3)
	v_sub_co_u32 v30, vcc_lo, v28, s14
	v_cmp_le_u32_e64 s1, s14, v28
	v_subrev_co_ci_u32_e64 v31, null, 0, v13, vcc_lo
	v_subrev_co_ci_u32_e64 v13, null, s15, v13, vcc_lo
	s_delay_alu instid0(VALU_DEP_3) | instskip(SKIP_2) | instid1(VALU_DEP_2)
	v_cndmask_b32_e64 v32, 0, -1, s1
	v_cmp_le_u32_e64 s1, s14, v30
	v_cmp_le_u32_e32 vcc_lo, s15, v29
	v_cndmask_b32_e64 v33, 0, -1, s1
	v_cmp_le_u32_e64 s1, s15, v31
	v_cndmask_b32_e64 v38, 0, -1, vcc_lo
	v_cmp_eq_u32_e32 vcc_lo, s15, v31
	s_delay_alu instid0(VALU_DEP_3) | instskip(SKIP_1) | instid1(VALU_DEP_1)
	v_cndmask_b32_e64 v37, 0, -1, s1
	v_cmp_eq_u32_e64 s1, s15, v29
	v_dual_cndmask_b32 v33, v37, v33, vcc_lo :: v_dual_cndmask_b32 v32, v38, v32, s1
	v_sub_co_u32 v37, vcc_lo, v30, s14
	s_delay_alu instid0(VALU_DEP_1) | instskip(NEXT) | instid1(VALU_DEP_3)
	v_subrev_co_ci_u32_e64 v13, null, 0, v13, vcc_lo
	v_cmp_ne_u32_e32 vcc_lo, 0, v33
	s_delay_alu instid0(VALU_DEP_3) | instskip(NEXT) | instid1(VALU_DEP_3)
	v_cndmask_b32_e32 v30, v30, v37, vcc_lo
	v_cndmask_b32_e32 v13, v31, v13, vcc_lo
	v_cmp_ne_u32_e32 vcc_lo, 0, v32
	s_delay_alu instid0(VALU_DEP_2) | instskip(NEXT) | instid1(VALU_DEP_1)
	v_dual_cndmask_b32 v28, v28, v30 :: v_dual_cndmask_b32 v13, v29, v13
	v_xor_b32_e32 v28, v28, v26
	s_delay_alu instid0(VALU_DEP_2) | instskip(NEXT) | instid1(VALU_DEP_1)
	v_xor_b32_e32 v29, v13, v26
	v_sub_nc_u64_e32 v[26:27], v[28:29], v[26:27]
.LBB0_69:                               ;   in Loop: Header=BB0_43 Depth=1
	s_and_not1_saveexec_b32 s1, s31
	s_cbranch_execz .LBB0_71
; %bb.70:                               ;   in Loop: Header=BB0_43 Depth=1
	v_cvt_f32_u32_e32 v13, s10
	v_mov_b32_e32 v27, v12
	s_delay_alu instid0(VALU_DEP_2) | instskip(SKIP_1) | instid1(TRANS32_DEP_1)
	v_rcp_iflag_f32_e32 v13, v13
	v_nop
	v_mul_f32_e32 v13, 0x4f7ffffe, v13
	s_delay_alu instid0(VALU_DEP_1) | instskip(NEXT) | instid1(VALU_DEP_1)
	v_cvt_u32_f32_e32 v13, v13
	v_mul_lo_u32 v26, s28, v13
	s_delay_alu instid0(VALU_DEP_1) | instskip(NEXT) | instid1(VALU_DEP_1)
	v_mul_hi_u32 v26, v13, v26
	v_add_nc_u32_e32 v13, v13, v26
	s_delay_alu instid0(VALU_DEP_1) | instskip(NEXT) | instid1(VALU_DEP_1)
	v_mul_hi_u32 v13, v24, v13
	v_mul_lo_u32 v13, v13, s10
	s_delay_alu instid0(VALU_DEP_1) | instskip(NEXT) | instid1(VALU_DEP_1)
	v_sub_nc_u32_e32 v13, v24, v13
	v_subrev_nc_u32_e32 v26, s10, v13
	v_cmp_le_u32_e32 vcc_lo, s10, v13
	s_delay_alu instid0(VALU_DEP_2) | instskip(NEXT) | instid1(VALU_DEP_1)
	v_cndmask_b32_e32 v13, v13, v26, vcc_lo
	v_subrev_nc_u32_e32 v26, s10, v13
	v_cmp_le_u32_e32 vcc_lo, s10, v13
	s_delay_alu instid0(VALU_DEP_2)
	v_cndmask_b32_e32 v26, v13, v26, vcc_lo
.LBB0_71:                               ;   in Loop: Header=BB0_43 Depth=1
	s_or_b32 exec_lo, exec_lo, s1
	s_delay_alu instid0(VALU_DEP_1) | instskip(SKIP_2) | instid1(VALU_DEP_1)
	v_cmp_eq_u64_e32 vcc_lo, s[12:13], v[26:27]
	v_mov_b32_e32 v27, s5
	v_cndmask_b32_e64 v26, 0, 1, vcc_lo
	v_sub_nc_u64_e32 v[24:25], v[24:25], v[26:27]
	s_branch .LBB0_42
.LBB0_72:                               ;   in Loop: Header=BB0_43 Depth=1
	global_load_b32 v22, v[22:23], off
	v_mul_u64_e32 v[20:21], s[10:11], v[20:21]
	s_mov_b32 s1, exec_lo
                                        ; implicit-def: $vgpr24_vgpr25
	s_wait_loadcnt 0x0
	v_ashrrev_i32_e32 v23, 31, v22
	s_delay_alu instid0(VALU_DEP_1)
	v_cmpx_ne_u64_e64 s[12:13], v[22:23]
	s_xor_b32 s1, exec_lo, s1
; %bb.73:                               ;   in Loop: Header=BB0_43 Depth=1
	s_delay_alu instid0(VALU_DEP_3)
	v_add_nc_u64_e32 v[24:25], v[20:21], v[22:23]
                                        ; implicit-def: $vgpr20_vgpr21
; %bb.74:                               ;   in Loop: Header=BB0_43 Depth=1
	s_and_not1_saveexec_b32 s1, s1
	s_cbranch_execz .LBB0_41
; %bb.75:                               ;   in Loop: Header=BB0_43 Depth=1
	v_add_nc_u64_e32 v[24:25], s[18:19], v[20:21]
	s_branch .LBB0_41
.LBB0_76:
	s_or_b32 exec_lo, exec_lo, s29
.LBB0_77:
	s_delay_alu instid0(SALU_CYCLE_1) | instskip(SKIP_1) | instid1(VALU_DEP_1)
	s_or_b32 exec_lo, exec_lo, s26
	v_max_num_f64_e32 v[0:1], v[10:11], v[10:11]
	v_max_num_f64_e32 v[0:1], -1.0, v[0:1]
	s_delay_alu instid0(VALU_DEP_1) | instskip(SKIP_1) | instid1(VALU_DEP_1)
	v_cmp_gt_f64_e32 vcc_lo, v[8:9], v[0:1]
	v_dual_cndmask_b32 v1, v1, v9 :: v_dual_cndmask_b32 v0, v0, v8
	v_cmp_gt_f64_e64 s0, v[6:7], v[0:1]
	s_delay_alu instid0(VALU_DEP_1) | instskip(SKIP_1) | instid1(VALU_DEP_2)
	v_dual_cndmask_b32 v1, v1, v7, s0 :: v_dual_cndmask_b32 v0, v0, v6, s0
	v_cndmask_b32_e64 v6, 1, 2, vcc_lo
	v_cmp_gt_f64_e64 s1, v[4:5], v[0:1]
	s_delay_alu instid0(VALU_DEP_2) | instskip(NEXT) | instid1(VALU_DEP_2)
	v_cndmask_b32_e64 v6, v6, 3, s0
	v_dual_cndmask_b32 v1, v1, v5, s1 :: v_dual_cndmask_b32 v0, v0, v4, s1
	s_delay_alu instid0(VALU_DEP_2) | instskip(NEXT) | instid1(VALU_DEP_2)
	v_cndmask_b32_e64 v4, v6, 4, s1
	v_cmp_ngt_f64_e32 vcc_lo, v[2:3], v[0:1]
	s_delay_alu instid0(VALU_DEP_2)
	v_cndmask_b32_e32 v0, 5, v4, vcc_lo
	global_store_b32 v34, v0, s[2:3] scale_offset
.LBB0_78:
	s_endpgm
	.section	.rodata,"a",@progbits
	.p2align	6, 0x0
	.amdhsa_kernel _Z6lookupPKiPKdS0_PK16NuclideGridPointPiS2_S0_illiii
		.amdhsa_group_segment_fixed_size 0
		.amdhsa_private_segment_fixed_size 0
		.amdhsa_kernarg_size 352
		.amdhsa_user_sgpr_count 2
		.amdhsa_user_sgpr_dispatch_ptr 0
		.amdhsa_user_sgpr_queue_ptr 0
		.amdhsa_user_sgpr_kernarg_segment_ptr 1
		.amdhsa_user_sgpr_dispatch_id 0
		.amdhsa_user_sgpr_kernarg_preload_length 0
		.amdhsa_user_sgpr_kernarg_preload_offset 0
		.amdhsa_user_sgpr_private_segment_size 0
		.amdhsa_wavefront_size32 1
		.amdhsa_uses_dynamic_stack 0
		.amdhsa_enable_private_segment 0
		.amdhsa_system_sgpr_workgroup_id_x 1
		.amdhsa_system_sgpr_workgroup_id_y 0
		.amdhsa_system_sgpr_workgroup_id_z 0
		.amdhsa_system_sgpr_workgroup_info 0
		.amdhsa_system_vgpr_workitem_id 0
		.amdhsa_next_free_vgpr 56
		.amdhsa_next_free_sgpr 42
		.amdhsa_named_barrier_count 0
		.amdhsa_reserve_vcc 1
		.amdhsa_float_round_mode_32 0
		.amdhsa_float_round_mode_16_64 0
		.amdhsa_float_denorm_mode_32 3
		.amdhsa_float_denorm_mode_16_64 3
		.amdhsa_fp16_overflow 0
		.amdhsa_memory_ordered 1
		.amdhsa_forward_progress 1
		.amdhsa_inst_pref_size 28
		.amdhsa_round_robin_scheduling 0
		.amdhsa_exception_fp_ieee_invalid_op 0
		.amdhsa_exception_fp_denorm_src 0
		.amdhsa_exception_fp_ieee_div_zero 0
		.amdhsa_exception_fp_ieee_overflow 0
		.amdhsa_exception_fp_ieee_underflow 0
		.amdhsa_exception_fp_ieee_inexact 0
		.amdhsa_exception_int_div_zero 0
	.end_amdhsa_kernel
	.text
.Lfunc_end0:
	.size	_Z6lookupPKiPKdS0_PK16NuclideGridPointPiS2_S0_illiii, .Lfunc_end0-_Z6lookupPKiPKdS0_PK16NuclideGridPointPiS2_S0_illiii
                                        ; -- End function
	.set _Z6lookupPKiPKdS0_PK16NuclideGridPointPiS2_S0_illiii.num_vgpr, 56
	.set _Z6lookupPKiPKdS0_PK16NuclideGridPointPiS2_S0_illiii.num_agpr, 0
	.set _Z6lookupPKiPKdS0_PK16NuclideGridPointPiS2_S0_illiii.numbered_sgpr, 42
	.set _Z6lookupPKiPKdS0_PK16NuclideGridPointPiS2_S0_illiii.num_named_barrier, 0
	.set _Z6lookupPKiPKdS0_PK16NuclideGridPointPiS2_S0_illiii.private_seg_size, 0
	.set _Z6lookupPKiPKdS0_PK16NuclideGridPointPiS2_S0_illiii.uses_vcc, 1
	.set _Z6lookupPKiPKdS0_PK16NuclideGridPointPiS2_S0_illiii.uses_flat_scratch, 0
	.set _Z6lookupPKiPKdS0_PK16NuclideGridPointPiS2_S0_illiii.has_dyn_sized_stack, 0
	.set _Z6lookupPKiPKdS0_PK16NuclideGridPointPiS2_S0_illiii.has_recursion, 0
	.set _Z6lookupPKiPKdS0_PK16NuclideGridPointPiS2_S0_illiii.has_indirect_call, 0
	.section	.AMDGPU.csdata,"",@progbits
; Kernel info:
; codeLenInByte = 3556
; TotalNumSgprs: 44
; NumVgprs: 56
; ScratchSize: 0
; MemoryBound: 0
; FloatMode: 240
; IeeeMode: 1
; LDSByteSize: 0 bytes/workgroup (compile time only)
; SGPRBlocks: 0
; VGPRBlocks: 3
; NumSGPRsForWavesPerEU: 44
; NumVGPRsForWavesPerEU: 56
; NamedBarCnt: 0
; Occupancy: 16
; WaveLimiterHint : 1
; COMPUTE_PGM_RSRC2:SCRATCH_EN: 0
; COMPUTE_PGM_RSRC2:USER_SGPR: 2
; COMPUTE_PGM_RSRC2:TRAP_HANDLER: 0
; COMPUTE_PGM_RSRC2:TGID_X_EN: 1
; COMPUTE_PGM_RSRC2:TGID_Y_EN: 0
; COMPUTE_PGM_RSRC2:TGID_Z_EN: 0
; COMPUTE_PGM_RSRC2:TIDIG_COMP_CNT: 0
	.text
	.p2alignl 7, 3214868480
	.fill 96, 4, 3214868480
	.section	.AMDGPU.gpr_maximums,"",@progbits
	.set amdgpu.max_num_vgpr, 0
	.set amdgpu.max_num_agpr, 0
	.set amdgpu.max_num_sgpr, 0
	.text
	.type	__hip_cuid_75c3781bb3f63400,@object ; @__hip_cuid_75c3781bb3f63400
	.section	.bss,"aw",@nobits
	.globl	__hip_cuid_75c3781bb3f63400
__hip_cuid_75c3781bb3f63400:
	.byte	0                               ; 0x0
	.size	__hip_cuid_75c3781bb3f63400, 1

	.ident	"AMD clang version 22.0.0git (https://github.com/RadeonOpenCompute/llvm-project roc-7.2.4 26084 f58b06dce1f9c15707c5f808fd002e18c2accf7e)"
	.section	".note.GNU-stack","",@progbits
	.addrsig
	.addrsig_sym __hip_cuid_75c3781bb3f63400
	.amdgpu_metadata
---
amdhsa.kernels:
  - .args:
      - .actual_access:  read_only
        .address_space:  global
        .offset:         0
        .size:           8
        .value_kind:     global_buffer
      - .actual_access:  read_only
        .address_space:  global
        .offset:         8
        .size:           8
        .value_kind:     global_buffer
      - .actual_access:  read_only
        .address_space:  global
        .offset:         16
        .size:           8
        .value_kind:     global_buffer
      - .actual_access:  read_only
        .address_space:  global
        .offset:         24
        .size:           8
        .value_kind:     global_buffer
      - .actual_access:  write_only
        .address_space:  global
        .offset:         32
        .size:           8
        .value_kind:     global_buffer
      - .actual_access:  read_only
        .address_space:  global
        .offset:         40
        .size:           8
        .value_kind:     global_buffer
      - .actual_access:  read_only
        .address_space:  global
        .offset:         48
        .size:           8
        .value_kind:     global_buffer
      - .offset:         56
        .size:           4
        .value_kind:     by_value
      - .offset:         64
        .size:           8
        .value_kind:     by_value
      - .offset:         72
        .size:           8
        .value_kind:     by_value
      - .offset:         80
        .size:           4
        .value_kind:     by_value
      - .offset:         84
        .size:           4
        .value_kind:     by_value
      - .offset:         88
        .size:           4
        .value_kind:     by_value
      - .offset:         96
        .size:           4
        .value_kind:     hidden_block_count_x
      - .offset:         100
        .size:           4
        .value_kind:     hidden_block_count_y
      - .offset:         104
        .size:           4
        .value_kind:     hidden_block_count_z
      - .offset:         108
        .size:           2
        .value_kind:     hidden_group_size_x
      - .offset:         110
        .size:           2
        .value_kind:     hidden_group_size_y
      - .offset:         112
        .size:           2
        .value_kind:     hidden_group_size_z
      - .offset:         114
        .size:           2
        .value_kind:     hidden_remainder_x
      - .offset:         116
        .size:           2
        .value_kind:     hidden_remainder_y
      - .offset:         118
        .size:           2
        .value_kind:     hidden_remainder_z
      - .offset:         136
        .size:           8
        .value_kind:     hidden_global_offset_x
      - .offset:         144
        .size:           8
        .value_kind:     hidden_global_offset_y
      - .offset:         152
        .size:           8
        .value_kind:     hidden_global_offset_z
      - .offset:         160
        .size:           2
        .value_kind:     hidden_grid_dims
    .group_segment_fixed_size: 0
    .kernarg_segment_align: 8
    .kernarg_segment_size: 352
    .language:       OpenCL C
    .language_version:
      - 2
      - 0
    .max_flat_workgroup_size: 1024
    .name:           _Z6lookupPKiPKdS0_PK16NuclideGridPointPiS2_S0_illiii
    .private_segment_fixed_size: 0
    .sgpr_count:     44
    .sgpr_spill_count: 0
    .symbol:         _Z6lookupPKiPKdS0_PK16NuclideGridPointPiS2_S0_illiii.kd
    .uniform_work_group_size: 1
    .uses_dynamic_stack: false
    .vgpr_count:     56
    .vgpr_spill_count: 0
    .wavefront_size: 32
amdhsa.target:   amdgcn-amd-amdhsa--gfx1250
amdhsa.version:
  - 1
  - 2
...

	.end_amdgpu_metadata
